;; amdgpu-corpus repo=zjin-lcf/HeCBench kind=compiled arch=gfx906 opt=O3
	.amdgcn_target "amdgcn-amd-amdhsa--gfx906"
	.amdhsa_code_object_version 6
	.text
	.protected	_Z6TwoOptiPKfS0_PiS1_S1_ ; -- Begin function _Z6TwoOptiPKfS0_PiS1_S1_
	.globl	_Z6TwoOptiPKfS0_PiS1_S1_
	.p2align	8
	.type	_Z6TwoOptiPKfS0_PiS1_S1_,@function
_Z6TwoOptiPKfS0_PiS1_S1_:               ; @_Z6TwoOptiPKfS0_PiS1_S1_
; %bb.0:
	s_load_dword s18, s[4:5], 0x0
	s_load_dwordx4 s[12:15], s[4:5], 0x18
	s_load_dwordx2 s[16:17], s[4:5], 0x28
	s_waitcnt lgkmcnt(0)
	s_mul_i32 s0, s18, 3
	s_add_i32 s0, s0, 33
	s_ashr_i32 s1, s0, 31
	s_lshr_b32 s1, s1, 27
	s_add_i32 s0, s0, s1
	s_lshr_b32 s0, s0, 5
	s_mul_i32 s0, s6, s0
	s_lshl_b32 s0, s0, 5
	s_mov_b32 s1, 0
	s_lshl_b64 s[30:31], s[0:1], 2
	s_add_u32 s33, s12, s30
	s_addc_u32 s36, s13, s31
	s_ashr_i32 s19, s18, 31
	s_lshl_b64 s[24:25], s[18:19], 2
	s_add_u32 s20, s33, s24
	s_addc_u32 s21, s36, s25
	s_add_u32 s22, s20, s24
	s_addc_u32 s23, s21, s25
	v_cmp_gt_i32_e64 s[2:3], s18, v0
	s_and_saveexec_b64 s[0:1], s[2:3]
	s_cbranch_execz .LBB0_5
; %bb.1:
	s_load_dword s7, s[4:5], 0x3c
	s_load_dwordx4 s[8:11], s[4:5], 0x8
	s_mov_b64 s[26:27], 0
	v_mov_b32_e32 v3, s21
	v_mov_b32_e32 v1, v0
	s_waitcnt lgkmcnt(0)
	s_and_b32 s7, s7, 0xffff
	v_mov_b32_e32 v4, s9
.LBB0_2:                                ; =>This Inner Loop Header: Depth=1
	v_ashrrev_i32_e32 v2, 31, v1
	v_lshlrev_b64 v[5:6], 2, v[1:2]
	v_add_u32_e32 v1, s7, v1
	v_add_co_u32_e32 v7, vcc, s8, v5
	v_addc_co_u32_e32 v8, vcc, v4, v6, vcc
	global_load_dword v2, v[7:8], off
	v_add_co_u32_e32 v5, vcc, s20, v5
	v_addc_co_u32_e32 v6, vcc, v3, v6, vcc
	v_cmp_le_i32_e32 vcc, s18, v1
	s_or_b64 s[26:27], vcc, s[26:27]
	s_waitcnt vmcnt(0)
	global_store_dword v[5:6], v2, off
	s_andn2_b64 exec, exec, s[26:27]
	s_cbranch_execnz .LBB0_2
; %bb.3:
	s_or_b64 exec, exec, s[26:27]
	s_mov_b64 s[8:9], 0
	v_mov_b32_e32 v3, s11
	v_mov_b32_e32 v4, s23
	;; [unrolled: 1-line block ×3, first 2 shown]
.LBB0_4:                                ; =>This Inner Loop Header: Depth=1
	v_ashrrev_i32_e32 v2, 31, v1
	v_lshlrev_b64 v[5:6], 2, v[1:2]
	v_add_u32_e32 v1, s7, v1
	v_add_co_u32_e32 v7, vcc, s10, v5
	v_addc_co_u32_e32 v8, vcc, v3, v6, vcc
	global_load_dword v2, v[7:8], off
	v_add_co_u32_e32 v5, vcc, s22, v5
	v_addc_co_u32_e32 v6, vcc, v4, v6, vcc
	v_cmp_le_i32_e32 vcc, s18, v1
	s_or_b64 s[8:9], vcc, s[8:9]
	s_waitcnt vmcnt(0)
	global_store_dword v[5:6], v2, off offset:4
	s_andn2_b64 exec, exec, s[8:9]
	s_cbranch_execnz .LBB0_4
.LBB0_5:
	s_or_b64 exec, exec, s[0:1]
	v_cmp_eq_u32_e64 s[0:1], 0, v0
	s_waitcnt vmcnt(0)
	s_barrier
	s_and_saveexec_b64 s[8:9], s[0:1]
	s_cbranch_execz .LBB0_10
; %bb.6:
	s_cmp_lt_u32 s18, 2
	s_cbranch_scc1 .LBB0_9
; %bb.7:
	s_add_i32 s7, s18, -1
	s_lshl_b64 s[10:11], s[18:19], 3
	s_add_u32 s10, s10, s30
	s_addc_u32 s11, s11, s31
	s_add_u32 s10, s12, s10
	s_addc_u32 s11, s13, s11
	;; [unrolled: 2-line block ×4, first 2 shown]
	v_cvt_f32_i32_e32 v1, s7
	s_add_u32 s26, s12, s26
	s_addc_u32 s27, s13, s27
	s_add_u32 s26, s26, 4
	s_addc_u32 s27, s27, 0
	v_mov_b32_e32 v2, 0
	v_mov_b32_e32 v3, s21
	;; [unrolled: 1-line block ×3, first 2 shown]
.LBB0_8:                                ; =>This Inner Loop Header: Depth=1
	s_mul_i32 s6, s6, 0x1984a2d
	s_add_i32 s6, s6, 1
	s_bitset0_b32 s6, 31
	v_cvt_f32_u32_e32 v5, s6
	global_load_dword v9, v2, s[26:27]
	s_add_i32 s7, s7, -1
	v_mul_f32_e32 v5, 0x30000000, v5
	v_mul_f32_e32 v5, v5, v1
	v_cvt_i32_f32_e32 v5, v5
	v_ashrrev_i32_e32 v6, 31, v5
	v_lshlrev_b64 v[5:6], 2, v[5:6]
	v_add_co_u32_e32 v7, vcc, s20, v5
	v_addc_co_u32_e32 v8, vcc, v3, v6, vcc
	global_load_dword v10, v[7:8], off offset:4
	v_add_co_u32_e32 v5, vcc, s22, v5
	v_addc_co_u32_e32 v6, vcc, v4, v6, vcc
	s_waitcnt vmcnt(0)
	global_store_dword v2, v10, s[26:27]
	global_store_dword v[7:8], v9, off offset:4
	global_load_dword v7, v[5:6], off offset:8
	s_nop 0
	global_load_dword v8, v2, s[10:11]
	s_waitcnt vmcnt(1)
	global_store_dword v2, v7, s[10:11]
	s_add_u32 s10, s10, 4
	s_addc_u32 s11, s11, 0
	s_add_u32 s26, s26, 4
	s_addc_u32 s27, s27, 0
	s_cmp_eq_u32 s7, 0
	s_waitcnt vmcnt(1)
	global_store_dword v[5:6], v8, off offset:8
	s_cbranch_scc0 .LBB0_8
.LBB0_9:
	v_mov_b32_e32 v1, 0
	global_load_dword v2, v1, s[20:21]
	global_load_dword v3, v1, s[22:23] offset:4
	s_add_u32 s6, s22, s24
	s_addc_u32 s7, s23, s25
	s_waitcnt vmcnt(1)
	global_store_dword v1, v2, s[22:23]
	s_waitcnt vmcnt(1)
	global_store_dword v1, v3, s[6:7] offset:4
.LBB0_10:
	s_or_b64 exec, exec, s[8:9]
	s_waitcnt vmcnt(0)
	s_barrier
	s_load_dword s4, s[4:5], 0x3c
	s_add_i32 s38, s18, -2
	s_cmp_gt_i32 s18, 2
	s_cselect_b64 s[26:27], -1, 0
	v_lshlrev_b32_e32 v14, 2, v0
	s_waitcnt lgkmcnt(0)
	s_and_b32 s37, s4, 0xffff
	s_add_u32 s28, s22, s24
	s_addc_u32 s29, s23, s25
	s_add_i32 s39, s18, -1
	s_ashr_i32 s6, s39, 31
	v_mov_b32_e32 v2, s6
	v_add_co_u32_e32 v1, vcc, s39, v0
	v_addc_co_u32_e32 v2, vcc, 0, v2, vcc
	v_lshlrev_b64 v[1:2], 2, v[1:2]
	s_add_u32 s6, s12, s30
	s_addc_u32 s7, s13, s31
	v_mov_b32_e32 v3, s7
	v_add_co_u32_e32 v1, vcc, s6, v1
	v_addc_co_u32_e32 v2, vcc, v3, v2, vcc
	s_movk_i32 s6, 0xfe04
	s_movk_i32 s4, 0x80
	v_add_co_u32_e32 v1, vcc, s6, v1
	v_add_u32_e32 v13, 0x600, v14
	v_lshlrev_b32_e32 v15, 1, v0
	v_cmp_gt_u32_e64 s[4:5], s4, v0
	v_mov_b32_e32 v16, 0
	v_addc_co_u32_e32 v2, vcc, -1, v2, vcc
	s_lshl_b32 s40, s37, 2
	s_lshl_b64 s[12:13], s[18:19], 3
	s_add_i32 s19, s18, 0xffffff80
	v_sub_u32_e32 v17, 0, v0
	s_mov_b32 s41, 0xf800000
	v_mov_b32_e32 v18, 0x260
	s_movk_i32 s42, 0x7f
	v_mov_b32_e32 v19, 0x600
                                        ; implicit-def: $vgpr6
                                        ; implicit-def: $vgpr21
                                        ; implicit-def: $vgpr20
                                        ; implicit-def: $vgpr4
	s_branch .LBB0_12
.LBB0_11:                               ;   in Loop: Header=BB0_12 Depth=1
	s_or_b64 exec, exec, s[6:7]
	s_waitcnt lgkmcnt(0)
	v_cmp_gt_i32_e32 vcc, 0, v12
	s_waitcnt vmcnt(0)
	s_barrier
	s_cbranch_vccz .LBB0_51
.LBB0_12:                               ; =>This Loop Header: Depth=1
                                        ;     Child Loop BB0_14 Depth 2
                                        ;     Child Loop BB0_18 Depth 2
                                        ;       Child Loop BB0_22 Depth 3
                                        ;         Child Loop BB0_25 Depth 4
                                        ;         Child Loop BB0_29 Depth 4
                                        ;     Child Loop BB0_40 Depth 2
                                        ;     Child Loop BB0_49 Depth 2
	s_and_saveexec_b64 s[8:9], s[2:3]
	s_cbranch_execz .LBB0_15
; %bb.13:                               ;   in Loop: Header=BB0_12 Depth=1
	s_mov_b64 s[10:11], 0
	v_mov_b32_e32 v7, v0
.LBB0_14:                               ;   Parent Loop BB0_12 Depth=1
                                        ; =>  This Inner Loop Header: Depth=2
	v_ashrrev_i32_e32 v8, 31, v7
	v_lshlrev_b64 v[8:9], 2, v[7:8]
	v_mov_b32_e32 v11, s21
	v_add_co_u32_e32 v10, vcc, s20, v8
	v_addc_co_u32_e32 v11, vcc, v11, v9, vcc
	global_load_dwordx2 v[10:11], v[10:11], off
	v_add_u32_e32 v7, s37, v7
	s_waitcnt vmcnt(0)
	v_sub_f32_e32 v12, v10, v11
	v_add_co_u32_e32 v10, vcc, s22, v8
	v_mov_b32_e32 v11, s23
	v_addc_co_u32_e32 v11, vcc, v11, v9, vcc
	global_load_dwordx2 v[10:11], v[10:11], off offset:4
	s_waitcnt vmcnt(0)
	v_sub_f32_e32 v10, v10, v11
	v_mul_f32_e32 v10, v10, v10
	v_fmac_f32_e32 v10, v12, v12
	v_cmp_gt_f32_e32 vcc, s41, v10
	v_mul_f32_e32 v11, 0x4f800000, v10
	v_cndmask_b32_e32 v10, v10, v11, vcc
	v_sqrt_f32_e32 v11, v10
	v_add_u32_e32 v12, -1, v11
	v_fma_f32 v22, -v12, v11, v10
	v_cmp_ge_f32_e64 s[6:7], 0, v22
	v_add_u32_e32 v22, 1, v11
	v_cndmask_b32_e64 v12, v11, v12, s[6:7]
	v_fma_f32 v11, -v22, v11, v10
	v_cmp_lt_f32_e64 s[6:7], 0, v11
	v_cndmask_b32_e64 v11, v12, v22, s[6:7]
	v_mul_f32_e32 v12, 0x37800000, v11
	v_cndmask_b32_e32 v11, v11, v12, vcc
	v_cmp_class_f32_e32 vcc, v10, v18
	v_cndmask_b32_e32 v10, v11, v10, vcc
	v_cvt_i32_f32_e32 v10, v10
	v_add_co_u32_e32 v8, vcc, s33, v8
	v_mov_b32_e32 v11, s36
	v_addc_co_u32_e32 v9, vcc, v11, v9, vcc
	v_cmp_le_i32_e32 vcc, s18, v7
	v_sub_u32_e32 v10, 0, v10
	s_or_b64 s[10:11], vcc, s[10:11]
	global_store_dword v[8:9], v10, off
	s_andn2_b64 exec, exec, s[10:11]
	s_cbranch_execnz .LBB0_14
.LBB0_15:                               ;   in Loop: Header=BB0_12 Depth=1
	s_or_b64 exec, exec, s[8:9]
	s_andn2_b64 vcc, exec, s[26:27]
	s_waitcnt vmcnt(0)
	s_barrier
	s_cbranch_vccnz .LBB0_33
; %bb.16:                               ;   in Loop: Header=BB0_12 Depth=1
	v_mov_b32_e32 v24, 1
	v_mov_b32_e32 v23, 0
	s_mov_b32 s43, 0
	v_mov_b32_e32 v22, 0
	s_branch .LBB0_18
.LBB0_17:                               ;   in Loop: Header=BB0_18 Depth=2
	s_or_b64 exec, exec, s[8:9]
	s_add_i32 s43, s43, s37
	s_cmp_ge_i32 s43, s38
	s_cbranch_scc1 .LBB0_34
.LBB0_18:                               ;   Parent Loop BB0_12 Depth=1
                                        ; =>  This Loop Header: Depth=2
                                        ;       Child Loop BB0_22 Depth 3
                                        ;         Child Loop BB0_25 Depth 4
                                        ;         Child Loop BB0_29 Depth 4
	v_add_u32_e32 v7, s43, v0
	v_cmp_gt_i32_e64 s[6:7], s38, v7
	v_ashrrev_i32_e32 v8, 31, v7
	s_and_saveexec_b64 s[8:9], s[6:7]
	s_cbranch_execz .LBB0_20
; %bb.19:                               ;   in Loop: Header=BB0_18 Depth=2
	v_lshlrev_b64 v[3:4], 2, v[7:8]
	v_mov_b32_e32 v5, s36
	v_add_co_u32_e32 v9, vcc, s33, v3
	v_addc_co_u32_e32 v10, vcc, v5, v4, vcc
	v_mov_b32_e32 v5, s21
	v_add_co_u32_e32 v11, vcc, s20, v3
	v_addc_co_u32_e32 v12, vcc, v5, v4, vcc
	;; [unrolled: 3-line block ×3, first 2 shown]
	global_load_dword v27, v[9:10], off
	global_load_dwordx2 v[3:4], v[11:12], off
	global_load_dwordx2 v[5:6], v[25:26], off offset:4
	global_load_dword v21, v16, s[22:23]
	global_load_dword v20, v16, s[28:29] offset:4
	s_waitcnt vmcnt(4)
	v_sub_u32_e32 v23, v23, v27
.LBB0_20:                               ;   in Loop: Header=BB0_18 Depth=2
	s_or_b64 exec, exec, s[8:9]
	v_mov_b32_e32 v10, v2
	s_add_i32 s44, s43, 2
	v_add_u32_e32 v25, 2, v7
	s_mov_b32 s45, s18
	s_mov_b32 s46, s19
	v_mov_b32_e32 v9, v1
	s_mov_b32 s47, s39
	s_branch .LBB0_22
.LBB0_21:                               ;   in Loop: Header=BB0_22 Depth=3
	s_or_b64 exec, exec, s[30:31]
	s_addk_i32 s47, 0xff80
	v_add_co_u32_e32 v9, vcc, 0xfffffe00, v9
	s_addk_i32 s46, 0xff80
	s_addk_i32 s45, 0xff80
	s_cmp_lt_i32 s47, s44
	v_addc_co_u32_e32 v10, vcc, -1, v10, vcc
	s_barrier
	s_cbranch_scc1 .LBB0_31
.LBB0_22:                               ;   Parent Loop BB0_12 Depth=1
                                        ;     Parent Loop BB0_18 Depth=2
                                        ; =>    This Loop Header: Depth=3
                                        ;         Child Loop BB0_25 Depth 4
                                        ;         Child Loop BB0_29 Depth 4
	s_and_saveexec_b64 s[8:9], s[4:5]
	s_cbranch_execz .LBB0_27
; %bb.23:                               ;   in Loop: Header=BB0_22 Depth=3
	v_mov_b32_e32 v12, v10
	s_mov_b64 s[10:11], 0
	v_mov_b32_e32 v26, v14
	v_mov_b32_e32 v11, v9
	;; [unrolled: 1-line block ×3, first 2 shown]
	s_branch .LBB0_25
.LBB0_24:                               ;   in Loop: Header=BB0_25 Depth=4
	s_or_b64 exec, exec, s[30:31]
	v_add_co_u32_e32 v11, vcc, s40, v11
	v_add_u32_e32 v27, s37, v27
	v_addc_co_u32_e32 v12, vcc, 0, v12, vcc
	v_cmp_lt_u32_e32 vcc, s42, v27
	s_or_b64 s[10:11], vcc, s[10:11]
	v_add_u32_e32 v26, s40, v26
	s_andn2_b64 exec, exec, s[10:11]
	s_cbranch_execz .LBB0_27
.LBB0_25:                               ;   Parent Loop BB0_12 Depth=1
                                        ;     Parent Loop BB0_18 Depth=2
                                        ;       Parent Loop BB0_22 Depth=3
                                        ; =>      This Inner Loop Header: Depth=4
	v_add_u32_e32 v28, s46, v27
	v_cmp_le_i32_e32 vcc, s44, v28
	s_and_saveexec_b64 s[30:31], vcc
	s_cbranch_execz .LBB0_24
; %bb.26:                               ;   in Loop: Header=BB0_25 Depth=4
	v_add_co_u32_e32 v28, vcc, s24, v11
	v_mov_b32_e32 v29, s25
	v_addc_co_u32_e32 v29, vcc, v12, v29, vcc
	global_load_dword v30, v[28:29], off
	v_add_co_u32_e32 v28, vcc, s12, v11
	v_mov_b32_e32 v29, s13
	v_addc_co_u32_e32 v29, vcc, v12, v29, vcc
	global_load_dword v28, v[28:29], off offset:4
	s_waitcnt vmcnt(0)
	ds_write_b32 v26, v28 offset:1024
	global_load_dword v28, v[11:12], off
	s_waitcnt vmcnt(0)
	ds_write2st64_b32 v26, v28, v30 offset1:2
	s_branch .LBB0_24
.LBB0_27:                               ;   in Loop: Header=BB0_22 Depth=3
	s_or_b64 exec, exec, s[8:9]
	v_cmp_ge_i32_e32 vcc, s47, v25
	s_waitcnt vmcnt(0) lgkmcnt(0)
	s_barrier
	s_and_saveexec_b64 s[30:31], vcc
	s_cbranch_execz .LBB0_21
; %bb.28:                               ;   in Loop: Header=BB0_22 Depth=3
	s_add_i32 s8, s47, 0xffffff81
	v_max_i32_e32 v26, s8, v25
	s_movk_i32 s48, 0x1fc
	s_mov_b64 s[34:35], 0
	s_mov_b32 s49, s45
.LBB0_29:                               ;   Parent Loop BB0_12 Depth=1
                                        ;     Parent Loop BB0_18 Depth=2
                                        ;       Parent Loop BB0_22 Depth=3
                                        ; =>      This Inner Loop Header: Depth=4
	v_mov_b32_e32 v27, v20
	v_mov_b32_e32 v20, s48
	ds_read2st64_b32 v[11:12], v20 offset1:2
	ds_read_b32 v20, v20 offset:1024
	v_sub_f32_e32 v27, v6, v27
	s_add_i32 s49, s49, -1
	v_sub_f32_e32 v21, v4, v21
	v_mul_f32_e32 v27, v27, v27
	s_add_i32 s48, s48, -4
	v_cmp_le_i32_e32 vcc, s49, v26
	v_fmac_f32_e32 v27, v21, v21
	s_or_b64 s[34:35], vcc, s[34:35]
	v_mul_f32_e32 v21, 0x4f800000, v27
	v_cmp_gt_f32_e32 vcc, s41, v27
	v_cndmask_b32_e32 v21, v27, v21, vcc
	s_waitcnt lgkmcnt(0)
	v_sub_f32_e32 v29, v5, v20
	v_sqrt_f32_e32 v30, v21
	v_sub_f32_e32 v27, v3, v12
	v_mul_f32_e32 v29, v29, v29
	v_fmac_f32_e32 v29, v27, v27
	v_mul_f32_e32 v27, 0x4f800000, v29
	v_cmp_gt_f32_e64 s[8:9], s41, v29
	v_cndmask_b32_e64 v27, v29, v27, s[8:9]
	v_add_u32_e32 v29, -1, v30
	v_add_u32_e32 v31, 1, v30
	v_sqrt_f32_e32 v32, v27
	v_fma_f32 v33, -v29, v30, v21
	v_fma_f32 v34, -v31, v30, v21
	v_cmp_ge_f32_e64 s[10:11], 0, v33
	v_cndmask_b32_e64 v29, v30, v29, s[10:11]
	v_cmp_lt_f32_e64 s[10:11], 0, v34
	v_cndmask_b32_e64 v29, v29, v31, s[10:11]
	v_mul_f32_e32 v30, 0x37800000, v29
	v_add_u32_e32 v31, -1, v32
	v_add_u32_e32 v33, 1, v32
	v_cndmask_b32_e32 v29, v29, v30, vcc
	v_cmp_class_f32_e32 vcc, v21, v18
	v_fma_f32 v30, -v31, v32, v27
	v_fma_f32 v34, -v33, v32, v27
	v_cndmask_b32_e32 v21, v29, v21, vcc
	v_cmp_ge_f32_e32 vcc, 0, v30
	v_cndmask_b32_e32 v29, v32, v31, vcc
	v_cmp_lt_f32_e32 vcc, 0, v34
	v_cvt_i32_f32_e32 v30, v21
	v_cndmask_b32_e32 v21, v29, v33, vcc
	v_mul_f32_e32 v29, 0x37800000, v21
	v_cndmask_b32_e64 v21, v21, v29, s[8:9]
	v_cmp_class_f32_e32 vcc, v27, v18
	v_cndmask_b32_e32 v21, v21, v27, vcc
	v_cvt_i32_f32_e32 v27, v21
	v_mov_b32_e32 v28, s49
	v_mov_b32_e32 v21, v12
	v_add3_u32 v11, v11, v30, v27
	v_cmp_gt_i32_e32 vcc, v23, v11
	v_cndmask_b32_e32 v22, v22, v28, vcc
	v_min_i32_e32 v23, v23, v11
	v_cndmask_b32_e32 v24, v24, v7, vcc
	s_andn2_b64 exec, exec, s[34:35]
	s_cbranch_execnz .LBB0_29
; %bb.30:                               ;   in Loop: Header=BB0_22 Depth=3
	s_or_b64 exec, exec, s[34:35]
	v_mov_b32_e32 v21, v12
	s_branch .LBB0_21
.LBB0_31:                               ;   in Loop: Header=BB0_18 Depth=2
	s_and_saveexec_b64 s[8:9], s[6:7]
	s_cbranch_execz .LBB0_17
; %bb.32:                               ;   in Loop: Header=BB0_18 Depth=2
	v_lshlrev_b64 v[7:8], 2, v[7:8]
	v_mov_b32_e32 v9, s36
	v_add_co_u32_e32 v7, vcc, s33, v7
	v_addc_co_u32_e32 v8, vcc, v9, v8, vcc
	global_load_dword v7, v[7:8], off
	s_waitcnt vmcnt(0)
	v_add_u32_e32 v23, v7, v23
	s_branch .LBB0_17
.LBB0_33:                               ;   in Loop: Header=BB0_12 Depth=1
	v_mov_b32_e32 v7, 2
	v_mov_b32_e32 v23, 0
	;; [unrolled: 1-line block ×3, first 2 shown]
	s_branch .LBB0_35
.LBB0_34:                               ;   in Loop: Header=BB0_12 Depth=1
	v_add_u32_e32 v7, 1, v24
.LBB0_35:                               ;   in Loop: Header=BB0_12 Depth=1
	s_barrier
	ds_write_b32 v13, v23
	s_and_saveexec_b64 s[6:7], s[0:1]
	s_cbranch_execz .LBB0_38
; %bb.36:                               ;   in Loop: Header=BB0_12 Depth=1
	s_mov_b64 s[8:9], exec
	v_mbcnt_lo_u32_b32 v8, s8, 0
	v_mbcnt_hi_u32_b32 v8, s9, v8
	v_cmp_eq_u32_e32 vcc, 0, v8
	s_and_b64 s[10:11], exec, vcc
	s_mov_b64 exec, s[10:11]
	s_cbranch_execz .LBB0_38
; %bb.37:                               ;   in Loop: Header=BB0_12 Depth=1
	s_bcnt1_i32_b64 s8, s[8:9]
	v_mov_b32_e32 v8, s8
	global_atomic_add v16, v8, s[14:15]
.LBB0_38:                               ;   in Loop: Header=BB0_12 Depth=1
	s_or_b64 exec, exec, s[6:7]
	v_mov_b32_e32 v8, v23
	s_mov_b32 s8, s37
	s_waitcnt vmcnt(0) lgkmcnt(0)
	s_barrier
	s_branch .LBB0_40
.LBB0_39:                               ;   in Loop: Header=BB0_40 Depth=2
	s_or_b64 exec, exec, s[6:7]
	s_cmp_gt_u32 s8, 2
	s_mov_b32 s8, s9
	s_waitcnt lgkmcnt(0)
	s_barrier
	s_cbranch_scc0 .LBB0_42
.LBB0_40:                               ;   Parent Loop BB0_12 Depth=1
                                        ; =>  This Inner Loop Header: Depth=2
	s_add_i32 s6, s8, 1
	s_lshr_b32 s9, s6, 1
	v_add_u32_e32 v9, s9, v0
	v_cmp_gt_u32_e32 vcc, s8, v9
	s_and_saveexec_b64 s[6:7], vcc
	s_cbranch_execz .LBB0_39
; %bb.41:                               ;   in Loop: Header=BB0_40 Depth=2
	v_lshl_add_u32 v9, s9, 2, v13
	ds_read_b32 v9, v9
	s_waitcnt lgkmcnt(0)
	v_min_i32_e32 v8, v8, v9
	ds_write_b32 v13, v8
	s_branch .LBB0_39
.LBB0_42:                               ;   in Loop: Header=BB0_12 Depth=1
	ds_read_b32 v8, v19
	s_waitcnt lgkmcnt(0)
	v_cmp_eq_u32_e32 vcc, v23, v8
	s_and_saveexec_b64 s[6:7], vcc
; %bb.43:                               ;   in Loop: Header=BB0_12 Depth=1
	ds_write_b32 v19, v0 offset:4
; %bb.44:                               ;   in Loop: Header=BB0_12 Depth=1
	s_or_b64 exec, exec, s[6:7]
	s_waitcnt lgkmcnt(0)
	s_barrier
	ds_read_b32 v8, v19 offset:4
	s_waitcnt lgkmcnt(0)
	v_cmp_eq_u32_e32 vcc, v0, v8
	s_and_saveexec_b64 s[6:7], vcc
; %bb.45:                               ;   in Loop: Header=BB0_12 Depth=1
	ds_write2_b32 v19, v7, v22 offset0:2 offset1:3
; %bb.46:                               ;   in Loop: Header=BB0_12 Depth=1
	s_or_b64 exec, exec, s[6:7]
	s_waitcnt lgkmcnt(0)
	s_barrier
	ds_read2_b32 v[7:8], v19 offset0:2 offset1:3
	ds_read_b32 v12, v19
	s_waitcnt lgkmcnt(1)
	v_add_u32_e32 v22, v8, v7
	v_cmp_lt_i32_e32 vcc, v15, v22
	s_and_saveexec_b64 s[6:7], vcc
	s_cbranch_execz .LBB0_11
; %bb.47:                               ;   in Loop: Header=BB0_12 Depth=1
	v_add_u32_e32 v8, v22, v17
	s_mov_b64 s[8:9], 0
	v_mov_b32_e32 v10, v0
	s_branch .LBB0_49
.LBB0_48:                               ;   in Loop: Header=BB0_49 Depth=2
	s_or_b64 exec, exec, s[10:11]
	v_add_u32_e32 v10, s37, v10
	v_lshlrev_b32_e32 v9, 1, v10
	v_cmp_ge_i32_e32 vcc, v9, v22
	s_or_b64 s[8:9], vcc, s[8:9]
	v_subrev_u32_e32 v8, s37, v8
	s_andn2_b64 exec, exec, s[8:9]
	s_cbranch_execz .LBB0_11
.LBB0_49:                               ;   Parent Loop BB0_12 Depth=1
                                        ; =>  This Inner Loop Header: Depth=2
	v_cmp_le_i32_e32 vcc, v7, v10
	s_and_saveexec_b64 s[10:11], vcc
	s_cbranch_execz .LBB0_48
; %bb.50:                               ;   in Loop: Header=BB0_49 Depth=2
	v_ashrrev_i32_e32 v11, 31, v10
	v_lshlrev_b64 v[23:24], 2, v[10:11]
	v_mov_b32_e32 v9, s21
	v_add_co_u32_e32 v25, vcc, s20, v23
	v_addc_co_u32_e32 v26, vcc, v9, v24, vcc
	v_ashrrev_i32_e32 v9, 31, v8
	v_lshlrev_b64 v[27:28], 2, v[8:9]
	v_mov_b32_e32 v9, s21
	v_add_co_u32_e32 v29, vcc, s20, v27
	v_addc_co_u32_e32 v30, vcc, v9, v28, vcc
	global_load_dword v9, v[29:30], off
	global_load_dword v11, v[25:26], off
	v_mov_b32_e32 v31, s23
	v_add_co_u32_e32 v23, vcc, s22, v23
	v_addc_co_u32_e32 v24, vcc, v31, v24, vcc
	v_add_co_u32_e32 v27, vcc, s22, v27
	v_addc_co_u32_e32 v28, vcc, v31, v28, vcc
	s_waitcnt vmcnt(1)
	global_store_dword v[25:26], v9, off
	s_waitcnt vmcnt(1)
	global_store_dword v[29:30], v11, off
	global_load_dword v9, v[27:28], off offset:4
	s_nop 0
	global_load_dword v11, v[23:24], off offset:4
	s_waitcnt vmcnt(1)
	global_store_dword v[23:24], v9, off offset:4
	s_waitcnt vmcnt(1)
	global_store_dword v[27:28], v11, off offset:4
	s_branch .LBB0_48
.LBB0_51:
	v_mov_b32_e32 v3, 0
	s_and_saveexec_b64 s[4:5], s[2:3]
	s_cbranch_execz .LBB0_55
; %bb.52:
	v_mov_b32_e32 v3, 0
	s_mov_b64 s[6:7], 0
	v_mov_b32_e32 v4, s21
	v_mov_b32_e32 v5, s23
	s_mov_b32 s8, 0xf800000
	v_mov_b32_e32 v6, 0x260
	v_mov_b32_e32 v1, v0
.LBB0_53:                               ; =>This Inner Loop Header: Depth=1
	v_ashrrev_i32_e32 v2, 31, v1
	v_lshlrev_b64 v[7:8], 2, v[1:2]
	v_add_u32_e32 v1, s37, v1
	v_add_co_u32_e32 v9, vcc, s20, v7
	v_addc_co_u32_e32 v10, vcc, v4, v8, vcc
	v_add_co_u32_e32 v7, vcc, s22, v7
	v_addc_co_u32_e32 v8, vcc, v5, v8, vcc
	global_load_dwordx2 v[11:12], v[9:10], off
	global_load_dwordx2 v[14:15], v[7:8], off offset:4
	s_waitcnt vmcnt(1)
	v_sub_f32_e32 v2, v11, v12
	s_waitcnt vmcnt(0)
	v_sub_f32_e32 v7, v14, v15
	v_mul_f32_e32 v7, v7, v7
	v_fmac_f32_e32 v7, v2, v2
	v_mul_f32_e32 v2, 0x4f800000, v7
	v_cmp_gt_f32_e32 vcc, s8, v7
	v_cndmask_b32_e32 v2, v7, v2, vcc
	v_sqrt_f32_e32 v7, v2
	v_add_u32_e32 v8, -1, v7
	v_add_u32_e32 v9, 1, v7
	v_fma_f32 v10, -v8, v7, v2
	v_fma_f32 v11, -v9, v7, v2
	v_cmp_ge_f32_e64 s[2:3], 0, v10
	v_cndmask_b32_e64 v7, v7, v8, s[2:3]
	v_cmp_lt_f32_e64 s[2:3], 0, v11
	v_cndmask_b32_e64 v7, v7, v9, s[2:3]
	v_mul_f32_e32 v8, 0x37800000, v7
	v_cndmask_b32_e32 v7, v7, v8, vcc
	v_cmp_class_f32_e32 vcc, v2, v6
	v_cndmask_b32_e32 v2, v7, v2, vcc
	v_cvt_i32_f32_e32 v2, v2
	v_cmp_le_i32_e32 vcc, s18, v1
	s_or_b64 s[6:7], vcc, s[6:7]
	v_add_u32_e32 v3, v3, v2
	s_andn2_b64 exec, exec, s[6:7]
	s_cbranch_execnz .LBB0_53
; %bb.54:
	s_or_b64 exec, exec, s[6:7]
.LBB0_55:
	s_or_b64 exec, exec, s[4:5]
	ds_write_b32 v13, v3
	s_waitcnt lgkmcnt(0)
	s_barrier
.LBB0_56:                               ; =>This Inner Loop Header: Depth=1
	s_add_i32 s2, s37, 1
	s_lshr_b32 s4, s2, 1
	v_add_u32_e32 v1, s4, v0
	v_cmp_gt_u32_e32 vcc, s37, v1
	s_and_saveexec_b64 s[2:3], vcc
	s_cbranch_execz .LBB0_58
; %bb.57:                               ;   in Loop: Header=BB0_56 Depth=1
	v_lshl_add_u32 v1, s4, 2, v13
	ds_read_b32 v1, v1
	s_waitcnt lgkmcnt(0)
	v_add_u32_e32 v3, v1, v3
.LBB0_58:                               ;   in Loop: Header=BB0_56 Depth=1
	s_or_b64 exec, exec, s[2:3]
	s_barrier
	s_and_saveexec_b64 s[2:3], vcc
; %bb.59:                               ;   in Loop: Header=BB0_56 Depth=1
	ds_write_b32 v13, v3
; %bb.60:                               ;   in Loop: Header=BB0_56 Depth=1
	s_or_b64 exec, exec, s[2:3]
	s_cmp_gt_u32 s37, 2
	s_waitcnt lgkmcnt(0)
	s_barrier
	s_cbranch_scc0 .LBB0_62
; %bb.61:                               ;   in Loop: Header=BB0_56 Depth=1
	s_mov_b32 s37, s4
	s_branch .LBB0_56
.LBB0_62:
	s_and_saveexec_b64 s[2:3], s[0:1]
	s_cbranch_execz .LBB0_67
; %bb.63:
	s_mov_b64 s[0:1], exec
	s_brev_b32 s2, -2
.LBB0_64:                               ; =>This Inner Loop Header: Depth=1
	s_ff1_i32_b64 s3, s[0:1]
	v_readlane_b32 s6, v3, s3
	s_lshl_b64 s[4:5], 1, s3
	s_min_i32 s2, s2, s6
	s_andn2_b64 s[0:1], s[0:1], s[4:5]
	s_cmp_lg_u64 s[0:1], 0
	s_cbranch_scc1 .LBB0_64
; %bb.65:
	v_mbcnt_lo_u32_b32 v0, exec_lo, 0
	v_mbcnt_hi_u32_b32 v0, exec_hi, v0
	v_cmp_eq_u32_e32 vcc, 0, v0
	s_and_saveexec_b64 s[0:1], vcc
	s_xor_b64 s[0:1], exec, s[0:1]
	s_cbranch_execz .LBB0_67
; %bb.66:
	v_mov_b32_e32 v0, 0
	v_mov_b32_e32 v1, s2
	global_atomic_smin v0, v1, s[16:17]
.LBB0_67:
	s_endpgm
	.section	.rodata,"a",@progbits
	.p2align	6, 0x0
	.amdhsa_kernel _Z6TwoOptiPKfS0_PiS1_S1_
		.amdhsa_group_segment_fixed_size 1536
		.amdhsa_private_segment_fixed_size 0
		.amdhsa_kernarg_size 304
		.amdhsa_user_sgpr_count 6
		.amdhsa_user_sgpr_private_segment_buffer 1
		.amdhsa_user_sgpr_dispatch_ptr 0
		.amdhsa_user_sgpr_queue_ptr 0
		.amdhsa_user_sgpr_kernarg_segment_ptr 1
		.amdhsa_user_sgpr_dispatch_id 0
		.amdhsa_user_sgpr_flat_scratch_init 0
		.amdhsa_user_sgpr_private_segment_size 0
		.amdhsa_uses_dynamic_stack 0
		.amdhsa_system_sgpr_private_segment_wavefront_offset 0
		.amdhsa_system_sgpr_workgroup_id_x 1
		.amdhsa_system_sgpr_workgroup_id_y 0
		.amdhsa_system_sgpr_workgroup_id_z 0
		.amdhsa_system_sgpr_workgroup_info 0
		.amdhsa_system_vgpr_workitem_id 0
		.amdhsa_next_free_vgpr 35
		.amdhsa_next_free_sgpr 50
		.amdhsa_reserve_vcc 1
		.amdhsa_reserve_flat_scratch 0
		.amdhsa_float_round_mode_32 0
		.amdhsa_float_round_mode_16_64 0
		.amdhsa_float_denorm_mode_32 3
		.amdhsa_float_denorm_mode_16_64 3
		.amdhsa_dx10_clamp 1
		.amdhsa_ieee_mode 1
		.amdhsa_fp16_overflow 0
		.amdhsa_exception_fp_ieee_invalid_op 0
		.amdhsa_exception_fp_denorm_src 0
		.amdhsa_exception_fp_ieee_div_zero 0
		.amdhsa_exception_fp_ieee_overflow 0
		.amdhsa_exception_fp_ieee_underflow 0
		.amdhsa_exception_fp_ieee_inexact 0
		.amdhsa_exception_int_div_zero 0
	.end_amdhsa_kernel
	.text
.Lfunc_end0:
	.size	_Z6TwoOptiPKfS0_PiS1_S1_, .Lfunc_end0-_Z6TwoOptiPKfS0_PiS1_S1_
                                        ; -- End function
	.set _Z6TwoOptiPKfS0_PiS1_S1_.num_vgpr, 35
	.set _Z6TwoOptiPKfS0_PiS1_S1_.num_agpr, 0
	.set _Z6TwoOptiPKfS0_PiS1_S1_.numbered_sgpr, 50
	.set _Z6TwoOptiPKfS0_PiS1_S1_.num_named_barrier, 0
	.set _Z6TwoOptiPKfS0_PiS1_S1_.private_seg_size, 0
	.set _Z6TwoOptiPKfS0_PiS1_S1_.uses_vcc, 1
	.set _Z6TwoOptiPKfS0_PiS1_S1_.uses_flat_scratch, 0
	.set _Z6TwoOptiPKfS0_PiS1_S1_.has_dyn_sized_stack, 0
	.set _Z6TwoOptiPKfS0_PiS1_S1_.has_recursion, 0
	.set _Z6TwoOptiPKfS0_PiS1_S1_.has_indirect_call, 0
	.section	.AMDGPU.csdata,"",@progbits
; Kernel info:
; codeLenInByte = 2924
; TotalNumSgprs: 54
; NumVgprs: 35
; ScratchSize: 0
; MemoryBound: 0
; FloatMode: 240
; IeeeMode: 1
; LDSByteSize: 1536 bytes/workgroup (compile time only)
; SGPRBlocks: 6
; VGPRBlocks: 8
; NumSGPRsForWavesPerEU: 54
; NumVGPRsForWavesPerEU: 35
; Occupancy: 7
; WaveLimiterHint : 0
; COMPUTE_PGM_RSRC2:SCRATCH_EN: 0
; COMPUTE_PGM_RSRC2:USER_SGPR: 6
; COMPUTE_PGM_RSRC2:TRAP_HANDLER: 0
; COMPUTE_PGM_RSRC2:TGID_X_EN: 1
; COMPUTE_PGM_RSRC2:TGID_Y_EN: 0
; COMPUTE_PGM_RSRC2:TGID_Z_EN: 0
; COMPUTE_PGM_RSRC2:TIDIG_COMP_CNT: 0
	.section	.AMDGPU.gpr_maximums,"",@progbits
	.set amdgpu.max_num_vgpr, 0
	.set amdgpu.max_num_agpr, 0
	.set amdgpu.max_num_sgpr, 0
	.section	.AMDGPU.csdata,"",@progbits
	.type	__hip_cuid_98a607226d881759,@object ; @__hip_cuid_98a607226d881759
	.section	.bss,"aw",@nobits
	.globl	__hip_cuid_98a607226d881759
__hip_cuid_98a607226d881759:
	.byte	0                               ; 0x0
	.size	__hip_cuid_98a607226d881759, 1

	.ident	"AMD clang version 22.0.0git (https://github.com/RadeonOpenCompute/llvm-project roc-7.2.4 26084 f58b06dce1f9c15707c5f808fd002e18c2accf7e)"
	.section	".note.GNU-stack","",@progbits
	.addrsig
	.addrsig_sym __hip_cuid_98a607226d881759
	.amdgpu_metadata
---
amdhsa.kernels:
  - .args:
      - .offset:         0
        .size:           4
        .value_kind:     by_value
      - .actual_access:  read_only
        .address_space:  global
        .offset:         8
        .size:           8
        .value_kind:     global_buffer
      - .actual_access:  read_only
        .address_space:  global
        .offset:         16
        .size:           8
        .value_kind:     global_buffer
      - .address_space:  global
        .offset:         24
        .size:           8
        .value_kind:     global_buffer
      - .address_space:  global
        .offset:         32
        .size:           8
        .value_kind:     global_buffer
      - .address_space:  global
        .offset:         40
        .size:           8
        .value_kind:     global_buffer
      - .offset:         48
        .size:           4
        .value_kind:     hidden_block_count_x
      - .offset:         52
        .size:           4
        .value_kind:     hidden_block_count_y
      - .offset:         56
        .size:           4
        .value_kind:     hidden_block_count_z
      - .offset:         60
        .size:           2
        .value_kind:     hidden_group_size_x
      - .offset:         62
        .size:           2
        .value_kind:     hidden_group_size_y
      - .offset:         64
        .size:           2
        .value_kind:     hidden_group_size_z
      - .offset:         66
        .size:           2
        .value_kind:     hidden_remainder_x
      - .offset:         68
        .size:           2
        .value_kind:     hidden_remainder_y
      - .offset:         70
        .size:           2
        .value_kind:     hidden_remainder_z
      - .offset:         88
        .size:           8
        .value_kind:     hidden_global_offset_x
      - .offset:         96
        .size:           8
        .value_kind:     hidden_global_offset_y
      - .offset:         104
        .size:           8
        .value_kind:     hidden_global_offset_z
      - .offset:         112
        .size:           2
        .value_kind:     hidden_grid_dims
      - .offset:         168
        .size:           4
        .value_kind:     hidden_dynamic_lds_size
    .group_segment_fixed_size: 1536
    .kernarg_segment_align: 8
    .kernarg_segment_size: 304
    .language:       OpenCL C
    .language_version:
      - 2
      - 0
    .max_flat_workgroup_size: 1024
    .name:           _Z6TwoOptiPKfS0_PiS1_S1_
    .private_segment_fixed_size: 0
    .sgpr_count:     54
    .sgpr_spill_count: 0
    .symbol:         _Z6TwoOptiPKfS0_PiS1_S1_.kd
    .uniform_work_group_size: 1
    .uses_dynamic_stack: false
    .vgpr_count:     35
    .vgpr_spill_count: 0
    .wavefront_size: 64
amdhsa.target:   amdgcn-amd-amdhsa--gfx906
amdhsa.version:
  - 1
  - 2
...

	.end_amdgpu_metadata
